;; amdgpu-corpus repo=ROCm/rocFFT kind=compiled arch=gfx906 opt=O3
	.text
	.amdgcn_target "amdgcn-amd-amdhsa--gfx906"
	.amdhsa_code_object_version 6
	.protected	fft_rtc_fwd_len52_factors_13_4_wgs_208_tpt_13_dp_op_CI_CI_sbcc_twdbase6_3step ; -- Begin function fft_rtc_fwd_len52_factors_13_4_wgs_208_tpt_13_dp_op_CI_CI_sbcc_twdbase6_3step
	.globl	fft_rtc_fwd_len52_factors_13_4_wgs_208_tpt_13_dp_op_CI_CI_sbcc_twdbase6_3step
	.p2align	8
	.type	fft_rtc_fwd_len52_factors_13_4_wgs_208_tpt_13_dp_op_CI_CI_sbcc_twdbase6_3step,@function
fft_rtc_fwd_len52_factors_13_4_wgs_208_tpt_13_dp_op_CI_CI_sbcc_twdbase6_3step: ; @fft_rtc_fwd_len52_factors_13_4_wgs_208_tpt_13_dp_op_CI_CI_sbcc_twdbase6_3step
; %bb.0:
	s_load_dwordx8 s[8:15], s[4:5], 0x8
	s_load_dwordx2 s[28:29], s[4:5], 0x28
	s_movk_i32 s0, 0xc0
	v_cmp_gt_u32_e32 vcc, s0, v0
	s_and_saveexec_b64 s[0:1], vcc
	s_cbranch_execz .LBB0_2
; %bb.1:
	v_lshlrev_b32_e32 v5, 4, v0
	s_waitcnt lgkmcnt(0)
	global_load_dwordx4 v[1:4], v5, s[8:9]
	v_add_u32_e32 v5, 0, v5
	v_add_u32_e32 v5, 0x3400, v5
	s_waitcnt vmcnt(0)
	ds_write2_b64 v5, v[1:2], v[3:4] offset1:1
.LBB0_2:
	s_or_b64 exec, exec, s[0:1]
	s_waitcnt lgkmcnt(0)
	s_load_dwordx2 s[30:31], s[12:13], 0x8
	s_mov_b32 s7, 0
	s_mov_b64 s[2:3], 0
	s_waitcnt lgkmcnt(0)
	s_add_u32 s0, s30, -1
	s_addc_u32 s1, s31, -1
	s_lshr_b64 s[0:1], s[0:1], 4
	s_add_u32 s34, s0, 1
	s_addc_u32 s35, s1, 0
	v_mov_b32_e32 v1, s34
	v_mov_b32_e32 v2, s35
	v_cmp_lt_u64_e32 vcc, s[6:7], v[1:2]
	s_cbranch_vccnz .LBB0_4
; %bb.3:
	v_cvt_f32_u32_e32 v1, s34
	s_sub_i32 s0, 0, s34
	v_rcp_iflag_f32_e32 v1, v1
	v_mul_f32_e32 v1, 0x4f7ffffe, v1
	v_cvt_u32_f32_e32 v1, v1
	v_readfirstlane_b32 s1, v1
	s_mul_i32 s0, s0, s1
	s_mul_hi_u32 s0, s1, s0
	s_add_i32 s1, s1, s0
	s_mul_hi_u32 s0, s6, s1
	s_mul_i32 s2, s0, s34
	s_sub_i32 s2, s6, s2
	s_add_i32 s1, s0, 1
	s_sub_i32 s3, s2, s34
	s_cmp_ge_u32 s2, s34
	s_cselect_b32 s0, s1, s0
	s_cselect_b32 s2, s3, s2
	s_add_i32 s1, s0, 1
	s_cmp_ge_u32 s2, s34
	s_cselect_b32 s2, s1, s0
	s_mov_b32 s3, s7
.LBB0_4:
	s_load_dwordx4 s[20:23], s[4:5], 0x60
	s_load_dwordx2 s[8:9], s[4:5], 0x0
	s_load_dwordx4 s[24:27], s[14:15], 0x0
	s_mul_i32 s0, s2, s35
	s_mul_hi_u32 s1, s2, s34
	s_add_i32 s1, s1, s0
	s_mul_i32 s0, s2, s34
	s_sub_u32 s0, s6, s0
	s_subb_u32 s1, 0, s1
	v_mov_b32_e32 v1, s0
	s_load_dwordx4 s[16:19], s[28:29], 0x0
	v_alignbit_b32 v1, s1, v1, 28
	s_waitcnt lgkmcnt(0)
	v_mul_lo_u32 v2, s26, v1
	s_lshl_b64 s[4:5], s[0:1], 4
	s_mul_hi_u32 s0, s26, s4
	v_mul_lo_u32 v3, s18, v1
	v_add_u32_e32 v2, s0, v2
	s_mul_i32 s0, s27, s4
	v_add_u32_e32 v2, s0, v2
	s_mul_i32 s0, s26, s4
	v_mov_b32_e32 v1, s0
	s_mul_hi_u32 s0, s18, s4
	v_add_u32_e32 v3, s0, v3
	s_mul_i32 s0, s19, s4
	v_add_u32_e32 v53, s0, v3
	v_cmp_lt_u64_e64 s[0:1], s[10:11], 3
	s_mul_i32 s33, s18, s4
	v_mov_b32_e32 v52, s33
	s_and_b64 vcc, exec, s[0:1]
	s_cbranch_vccnz .LBB0_13
; %bb.5:
	s_add_u32 s36, s28, 16
	s_addc_u32 s37, s29, 0
	s_add_u32 s38, s14, 16
	s_addc_u32 s39, s15, 0
	s_add_u32 s12, s12, 16
	v_mov_b32_e32 v3, s10
	s_addc_u32 s13, s13, 0
	s_mov_b64 s[40:41], 2
	s_mov_b32 s42, 0
	v_mov_b32_e32 v4, s11
	s_branch .LBB0_7
.LBB0_6:                                ;   in Loop: Header=BB0_7 Depth=1
	s_mul_i32 s33, s44, s35
	s_mul_hi_u32 s35, s44, s34
	s_add_i32 s33, s35, s33
	s_mul_i32 s35, s45, s34
	s_add_i32 s35, s33, s35
	s_mul_i32 s33, s0, s45
	s_mul_hi_u32 s43, s0, s44
	s_load_dwordx2 s[46:47], s[38:39], 0x0
	s_add_i32 s33, s43, s33
	s_mul_i32 s43, s1, s44
	s_add_i32 s33, s33, s43
	s_mul_i32 s43, s0, s44
	s_sub_u32 s43, s2, s43
	s_subb_u32 s33, s3, s33
	s_waitcnt lgkmcnt(0)
	s_mul_i32 s2, s46, s33
	s_mul_hi_u32 s3, s46, s43
	s_add_i32 s2, s3, s2
	s_mul_i32 s3, s47, s43
	s_add_i32 s2, s2, s3
	v_mov_b32_e32 v5, s2
	s_load_dwordx2 s[2:3], s[36:37], 0x0
	s_mul_i32 s34, s44, s34
	s_mul_i32 s44, s46, s43
	v_add_co_u32_e32 v1, vcc, s44, v1
	s_waitcnt lgkmcnt(0)
	s_mul_i32 s33, s2, s33
	s_mul_hi_u32 s44, s2, s43
	s_add_i32 s33, s44, s33
	s_mul_i32 s3, s3, s43
	s_add_i32 s3, s33, s3
	s_add_u32 s40, s40, 1
	s_addc_u32 s41, s41, 0
	v_addc_co_u32_e32 v2, vcc, v5, v2, vcc
	s_mul_i32 s2, s2, s43
	s_add_u32 s36, s36, 8
	v_mov_b32_e32 v5, s3
	v_add_co_u32_e32 v52, vcc, s2, v52
	s_addc_u32 s37, s37, 0
	v_addc_co_u32_e32 v53, vcc, v5, v53, vcc
	s_add_u32 s38, s38, 8
	s_addc_u32 s39, s39, 0
	v_cmp_ge_u64_e32 vcc, s[40:41], v[3:4]
	s_add_u32 s12, s12, 8
	s_addc_u32 s13, s13, 0
	s_mov_b64 s[2:3], s[0:1]
	s_cbranch_vccnz .LBB0_11
.LBB0_7:                                ; =>This Inner Loop Header: Depth=1
	s_load_dwordx2 s[44:45], s[12:13], 0x0
	s_waitcnt lgkmcnt(0)
	s_or_b64 s[0:1], s[2:3], s[44:45]
	s_mov_b32 s43, s1
	s_cmp_lg_u64 s[42:43], 0
	s_cbranch_scc0 .LBB0_9
; %bb.8:                                ;   in Loop: Header=BB0_7 Depth=1
	v_cvt_f32_u32_e32 v5, s44
	v_cvt_f32_u32_e32 v6, s45
	s_sub_u32 s0, 0, s44
	s_subb_u32 s1, 0, s45
	v_mac_f32_e32 v5, 0x4f800000, v6
	v_rcp_f32_e32 v5, v5
	v_mul_f32_e32 v5, 0x5f7ffffc, v5
	v_mul_f32_e32 v6, 0x2f800000, v5
	v_trunc_f32_e32 v6, v6
	v_mac_f32_e32 v5, 0xcf800000, v6
	v_cvt_u32_f32_e32 v6, v6
	v_cvt_u32_f32_e32 v5, v5
	v_readfirstlane_b32 s33, v6
	v_readfirstlane_b32 s43, v5
	s_mul_i32 s46, s0, s33
	s_mul_hi_u32 s48, s0, s43
	s_mul_i32 s47, s1, s43
	s_add_i32 s46, s48, s46
	s_mul_i32 s49, s0, s43
	s_add_i32 s46, s46, s47
	s_mul_hi_u32 s47, s43, s46
	s_mul_i32 s48, s43, s46
	s_mul_hi_u32 s43, s43, s49
	s_add_u32 s43, s43, s48
	s_addc_u32 s47, 0, s47
	s_mul_hi_u32 s50, s33, s49
	s_mul_i32 s49, s33, s49
	s_add_u32 s43, s43, s49
	s_mul_hi_u32 s48, s33, s46
	s_addc_u32 s43, s47, s50
	s_addc_u32 s47, s48, 0
	s_mul_i32 s46, s33, s46
	s_add_u32 s43, s43, s46
	s_addc_u32 s46, 0, s47
	v_add_co_u32_e32 v5, vcc, s43, v5
	s_cmp_lg_u64 vcc, 0
	s_addc_u32 s33, s33, s46
	v_readfirstlane_b32 s46, v5
	s_mul_i32 s43, s0, s33
	s_mul_hi_u32 s47, s0, s46
	s_add_i32 s43, s47, s43
	s_mul_i32 s1, s1, s46
	s_add_i32 s43, s43, s1
	s_mul_i32 s0, s0, s46
	s_mul_hi_u32 s47, s33, s0
	s_mul_i32 s48, s33, s0
	s_mul_i32 s50, s46, s43
	s_mul_hi_u32 s0, s46, s0
	s_mul_hi_u32 s49, s46, s43
	s_add_u32 s0, s0, s50
	s_addc_u32 s46, 0, s49
	s_add_u32 s0, s0, s48
	s_mul_hi_u32 s1, s33, s43
	s_addc_u32 s0, s46, s47
	s_addc_u32 s1, s1, 0
	s_mul_i32 s43, s33, s43
	s_add_u32 s0, s0, s43
	s_addc_u32 s1, 0, s1
	v_add_co_u32_e32 v5, vcc, s0, v5
	s_cmp_lg_u64 vcc, 0
	s_addc_u32 s0, s33, s1
	v_readfirstlane_b32 s43, v5
	s_mul_i32 s33, s2, s0
	s_mul_hi_u32 s46, s2, s43
	s_mul_hi_u32 s1, s2, s0
	s_add_u32 s33, s46, s33
	s_addc_u32 s1, 0, s1
	s_mul_hi_u32 s47, s3, s43
	s_mul_i32 s43, s3, s43
	s_add_u32 s33, s33, s43
	s_mul_hi_u32 s46, s3, s0
	s_addc_u32 s1, s1, s47
	s_addc_u32 s33, s46, 0
	s_mul_i32 s0, s3, s0
	s_add_u32 s43, s1, s0
	s_addc_u32 s33, 0, s33
	s_mul_i32 s0, s44, s33
	s_mul_hi_u32 s1, s44, s43
	s_add_i32 s0, s1, s0
	s_mul_i32 s1, s45, s43
	s_add_i32 s46, s0, s1
	s_mul_i32 s1, s44, s43
	v_mov_b32_e32 v5, s1
	s_sub_i32 s0, s3, s46
	v_sub_co_u32_e32 v5, vcc, s2, v5
	s_cmp_lg_u64 vcc, 0
	s_subb_u32 s47, s0, s45
	v_subrev_co_u32_e64 v6, s[0:1], s44, v5
	s_cmp_lg_u64 s[0:1], 0
	s_subb_u32 s0, s47, 0
	s_cmp_ge_u32 s0, s45
	v_readfirstlane_b32 s47, v6
	s_cselect_b32 s1, -1, 0
	s_cmp_ge_u32 s47, s44
	s_cselect_b32 s47, -1, 0
	s_cmp_eq_u32 s0, s45
	s_cselect_b32 s0, s47, s1
	s_add_u32 s1, s43, 1
	s_addc_u32 s47, s33, 0
	s_add_u32 s48, s43, 2
	s_addc_u32 s49, s33, 0
	s_cmp_lg_u32 s0, 0
	s_cselect_b32 s0, s48, s1
	s_cselect_b32 s1, s49, s47
	s_cmp_lg_u64 vcc, 0
	s_subb_u32 s46, s3, s46
	s_cmp_ge_u32 s46, s45
	v_readfirstlane_b32 s48, v5
	s_cselect_b32 s47, -1, 0
	s_cmp_ge_u32 s48, s44
	s_cselect_b32 s48, -1, 0
	s_cmp_eq_u32 s46, s45
	s_cselect_b32 s46, s48, s47
	s_cmp_lg_u32 s46, 0
	s_cselect_b32 s1, s1, s33
	s_cselect_b32 s0, s0, s43
	s_cbranch_execnz .LBB0_6
	s_branch .LBB0_10
.LBB0_9:                                ;   in Loop: Header=BB0_7 Depth=1
                                        ; implicit-def: $sgpr0_sgpr1
.LBB0_10:                               ;   in Loop: Header=BB0_7 Depth=1
	v_cvt_f32_u32_e32 v5, s44
	s_sub_i32 s0, 0, s44
	v_rcp_iflag_f32_e32 v5, v5
	v_mul_f32_e32 v5, 0x4f7ffffe, v5
	v_cvt_u32_f32_e32 v5, v5
	v_readfirstlane_b32 s1, v5
	s_mul_i32 s0, s0, s1
	s_mul_hi_u32 s0, s1, s0
	s_add_i32 s1, s1, s0
	s_mul_hi_u32 s0, s2, s1
	s_mul_i32 s33, s0, s44
	s_sub_i32 s33, s2, s33
	s_add_i32 s1, s0, 1
	s_sub_i32 s43, s33, s44
	s_cmp_ge_u32 s33, s44
	s_cselect_b32 s0, s1, s0
	s_cselect_b32 s33, s43, s33
	s_add_i32 s1, s0, 1
	s_cmp_ge_u32 s33, s44
	s_cselect_b32 s0, s1, s0
	s_mov_b32 s1, s42
	s_branch .LBB0_6
.LBB0_11:
	v_mov_b32_e32 v3, s34
	v_mov_b32_e32 v4, s35
	v_cmp_lt_u64_e32 vcc, s[6:7], v[3:4]
	s_mov_b64 s[2:3], 0
	s_cbranch_vccnz .LBB0_13
; %bb.12:
	v_cvt_f32_u32_e32 v3, s34
	s_sub_i32 s0, 0, s34
	v_rcp_iflag_f32_e32 v3, v3
	v_mul_f32_e32 v3, 0x4f7ffffe, v3
	v_cvt_u32_f32_e32 v3, v3
	v_readfirstlane_b32 s1, v3
	s_mul_i32 s0, s0, s1
	s_mul_hi_u32 s0, s1, s0
	s_add_i32 s1, s1, s0
	s_mul_hi_u32 s0, s6, s1
	s_mul_i32 s2, s0, s34
	s_sub_i32 s2, s6, s2
	s_add_i32 s1, s0, 1
	s_sub_i32 s3, s2, s34
	s_cmp_ge_u32 s2, s34
	s_cselect_b32 s0, s1, s0
	s_cselect_b32 s2, s3, s2
	s_add_i32 s1, s0, 1
	s_cmp_ge_u32 s2, s34
	s_cselect_b32 s2, s1, s0
.LBB0_13:
	s_lshl_b64 s[12:13], s[10:11], 3
	s_add_u32 s6, s28, s12
	s_addc_u32 s7, s29, s13
	s_add_u32 s0, s4, 16
	v_mov_b32_e32 v3, s30
	s_addc_u32 s1, s5, 0
	v_mov_b32_e32 v4, s31
	v_and_b32_e32 v101, 15, v0
	v_cmp_le_u64_e32 vcc, s[0:1], v[3:4]
	v_or_b32_e32 v3, s4, v101
	v_mov_b32_e32 v4, s5
	v_cmp_gt_u64_e64 s[0:1], s[30:31], v[3:4]
	v_lshrrev_b32_e32 v103, 4, v0
	s_or_b64 s[0:1], vcc, s[0:1]
	v_lshlrev_b32_e32 v102, 4, v103
	v_add_u32_e32 v100, 13, v103
	v_add_u32_e32 v99, 26, v103
	;; [unrolled: 1-line block ×3, first 2 shown]
	s_and_saveexec_b64 s[10:11], s[0:1]
	s_cbranch_execz .LBB0_15
; %bb.14:
	s_add_u32 s12, s14, s12
	s_addc_u32 s13, s15, s13
	s_load_dwordx2 s[12:13], s[12:13], 0x0
	v_mad_u64_u32 v[3:4], s[14:15], s26, v101, 0
	v_mad_u64_u32 v[5:6], s[14:15], s24, v103, 0
	s_waitcnt lgkmcnt(0)
	s_mul_i32 s3, s13, s2
	s_mul_hi_u32 s5, s12, s2
	v_mad_u64_u32 v[7:8], s[14:15], s27, v101, v[4:5]
	v_mov_b32_e32 v4, v6
	v_mad_u64_u32 v[8:9], s[14:15], s25, v103, v[4:5]
	s_add_i32 s13, s5, s3
	s_mul_i32 s12, s12, s2
	s_lshl_b64 s[12:13], s[12:13], 4
	s_add_u32 s3, s20, s12
	v_lshlrev_b64 v[1:2], 4, v[1:2]
	s_addc_u32 s5, s21, s13
	v_mov_b32_e32 v4, v7
	v_mov_b32_e32 v6, v8
	;; [unrolled: 1-line block ×3, first 2 shown]
	v_add_co_u32_e32 v8, vcc, s3, v1
	v_addc_co_u32_e32 v7, vcc, v7, v2, vcc
	v_lshlrev_b64 v[1:2], 4, v[3:4]
	v_lshlrev_b64 v[3:4], 4, v[5:6]
	v_add_co_u32_e32 v13, vcc, v8, v1
	v_addc_co_u32_e32 v14, vcc, v7, v2, vcc
	v_mad_u64_u32 v[1:2], s[12:13], s24, v100, 0
	v_mad_u64_u32 v[5:6], s[12:13], s24, v99, 0
	v_mad_u64_u32 v[7:8], s[12:13], s25, v100, v[2:3]
	v_mad_u64_u32 v[8:9], s[12:13], s24, v98, 0
	v_mov_b32_e32 v2, v6
	v_mad_u64_u32 v[10:11], s[12:13], s25, v99, v[2:3]
	v_mov_b32_e32 v2, v9
	v_mad_u64_u32 v[11:12], s[12:13], s25, v98, v[2:3]
	v_mov_b32_e32 v2, v7
	v_add_co_u32_e32 v17, vcc, v13, v3
	v_lshlrev_b64 v[1:2], 4, v[1:2]
	v_addc_co_u32_e32 v18, vcc, v14, v4, vcc
	v_mov_b32_e32 v6, v10
	v_lshlrev_b64 v[3:4], 4, v[5:6]
	v_add_co_u32_e32 v19, vcc, v13, v1
	v_mov_b32_e32 v9, v11
	v_addc_co_u32_e32 v20, vcc, v14, v2, vcc
	v_add_co_u32_e32 v21, vcc, v13, v3
	v_lshlrev_b64 v[1:2], 4, v[8:9]
	v_addc_co_u32_e32 v22, vcc, v14, v4, vcc
	v_add_co_u32_e32 v23, vcc, v13, v1
	v_addc_co_u32_e32 v24, vcc, v14, v2, vcc
	global_load_dwordx4 v[1:4], v[17:18], off
	global_load_dwordx4 v[5:8], v[19:20], off
	;; [unrolled: 1-line block ×4, first 2 shown]
	v_mul_u32_u24_e32 v17, 0x340, v101
	v_add3_u32 v17, 0, v17, v102
	s_waitcnt vmcnt(3)
	ds_write_b128 v17, v[1:4]
	s_waitcnt vmcnt(2)
	ds_write_b128 v17, v[5:8] offset:208
	s_waitcnt vmcnt(1)
	ds_write_b128 v17, v[9:12] offset:416
	;; [unrolled: 2-line block ×3, first 2 shown]
.LBB0_15:
	s_or_b64 exec, exec, s[10:11]
	s_mov_b32 s3, 0x13b13b14
	v_mul_hi_u32 v105, v0, s3
	s_waitcnt lgkmcnt(0)
	s_barrier
	v_and_b32_e32 v1, 15, v105
	v_mul_u32_u24_e32 v2, 13, v105
	v_mul_u32_u24_e32 v1, 52, v1
	v_sub_u32_e32 v106, v0, v2
	v_lshlrev_b32_e32 v108, 4, v1
	v_lshlrev_b32_e32 v0, 4, v106
	v_add3_u32 v107, 0, v108, v0
	v_add3_u32 v104, 0, v0, v108
	ds_read_b128 v[8:11], v107
	ds_read_b128 v[48:51], v104 offset:64
	ds_read_b128 v[44:47], v104 offset:128
	;; [unrolled: 1-line block ×12, first 2 shown]
	v_cmp_gt_u32_e32 vcc, 4, v106
	s_waitcnt lgkmcnt(0)
	s_barrier
	s_and_saveexec_b64 s[10:11], vcc
	s_cbranch_execz .LBB0_17
; %bb.16:
	v_add_f64 v[62:63], v[50:51], v[2:3]
	s_mov_b32 s12, 0x93053d00
	s_mov_b32 s13, 0xbfef11f4
	v_add_f64 v[58:59], v[46:47], v[6:7]
	v_add_f64 v[60:61], v[48:49], -v[0:1]
	s_mov_b32 s14, 0xe00740e9
	s_mov_b32 s24, 0x4bc48dbf
	;; [unrolled: 1-line block ×3, first 2 shown]
	v_mul_f64 v[88:89], v[62:63], s[12:13]
	s_mov_b32 s25, 0x3fcea1e5
	v_add_f64 v[56:57], v[42:43], v[14:15]
	v_add_f64 v[54:55], v[44:45], -v[4:5]
	v_mul_f64 v[90:91], v[58:59], s[14:15]
	s_mov_b32 s20, 0xd0032e0c
	s_mov_b32 s28, 0x4267c47c
	;; [unrolled: 1-line block ×3, first 2 shown]
	v_fma_f64 v[68:69], v[60:61], s[24:25], v[88:89]
	s_mov_b32 s29, 0xbfddbe06
	v_add_f64 v[64:65], v[40:41], -v[12:13]
	v_mul_f64 v[109:110], v[56:57], s[20:21]
	v_fma_f64 v[70:71], v[54:55], s[28:29], v[90:91]
	v_add_f64 v[96:97], v[50:51], -v[2:3]
	v_add_f64 v[72:73], v[38:39], v[18:19]
	s_mov_b32 s26, 0x24c2f84
	v_add_f64 v[68:69], v[10:11], v[68:69]
	s_mov_b32 s40, 0x1ea71119
	s_mov_b32 s27, 0x3fe5384d
	;; [unrolled: 1-line block ×5, first 2 shown]
	v_add_f64 v[80:81], v[10:11], v[50:51]
	v_add_f64 v[74:75], v[46:47], -v[6:7]
	v_add_f64 v[94:95], v[48:49], v[0:1]
	v_fma_f64 v[76:77], v[64:65], s[26:27], v[109:110]
	v_add_f64 v[68:69], v[70:71], v[68:69]
	v_mul_f64 v[92:93], v[96:97], s[30:31]
	v_add_f64 v[50:51], v[36:37], -v[16:17]
	v_mul_f64 v[111:112], v[72:73], s[40:41]
	s_mov_b32 s42, 0x42a4c3d2
	s_mov_b32 s35, 0x3fddbe06
	s_mov_b32 s34, s28
	s_mov_b32 s43, 0xbfea55e2
	v_add_f64 v[66:67], v[44:45], v[4:5]
	v_add_f64 v[78:79], v[76:77], v[68:69]
	v_fma_f64 v[68:69], v[94:95], s[12:13], v[92:93]
	v_mul_f64 v[113:114], v[74:75], s[34:35]
	v_fma_f64 v[84:85], v[50:51], s[42:43], v[111:112]
	v_add_f64 v[82:83], v[42:43], -v[14:15]
	s_mov_b32 s37, 0xbfe5384d
	s_mov_b32 s36, s26
	v_add_f64 v[76:77], v[40:41], v[12:13]
	s_mov_b32 s49, 0x3fea55e2
	v_add_f64 v[86:87], v[8:9], v[68:69]
	v_fma_f64 v[115:116], v[66:67], s[14:15], v[113:114]
	v_add_f64 v[121:122], v[84:85], v[78:79]
	v_mul_f64 v[117:118], v[82:83], s[36:37]
	v_add_f64 v[84:85], v[38:39], -v[18:19]
	s_mov_b32 s48, s42
	v_add_f64 v[78:79], v[36:37], v[16:17]
	v_add_f64 v[70:71], v[34:35], v[22:23]
	;; [unrolled: 1-line block ×4, first 2 shown]
	s_mov_b32 s38, 0xb2365da1
	v_fma_f64 v[115:116], v[76:77], s[20:21], v[117:118]
	v_mul_f64 v[123:124], v[84:85], s[48:49]
	s_mov_b32 s39, 0xbfd6b1d8
	v_add_f64 v[68:69], v[32:33], -v[20:21]
	v_mul_f64 v[119:120], v[70:71], s[38:39]
	v_fma_f64 v[88:89], v[60:61], s[30:31], v[88:89]
	s_mov_b32 s46, 0x2ef20147
	s_mov_b32 s47, 0x3fedeba7
	v_add_f64 v[46:47], v[115:116], v[86:87]
	v_fma_f64 v[115:116], v[78:79], s[40:41], v[123:124]
	v_add_f64 v[80:81], v[34:35], -v[22:23]
	v_add_f64 v[86:87], v[30:31], v[26:27]
	v_fma_f64 v[125:126], v[68:69], s[46:47], v[119:120]
	v_fma_f64 v[133:134], v[54:55], s[34:35], v[90:91]
	v_add_f64 v[88:89], v[10:11], v[88:89]
	v_fma_f64 v[113:114], v[66:67], s[14:15], -v[113:114]
	s_mov_b32 s50, 0xebaa3ed8
	v_add_f64 v[46:47], v[115:116], v[46:47]
	v_fma_f64 v[115:116], v[94:95], s[12:13], -v[92:93]
	s_mov_b32 s45, 0xbfedeba7
	s_mov_b32 s44, s46
	;; [unrolled: 1-line block ×3, first 2 shown]
	v_add_f64 v[127:128], v[8:9], v[48:49]
	v_add_f64 v[121:122], v[125:126], v[121:122]
	;; [unrolled: 1-line block ×3, first 2 shown]
	v_mul_f64 v[125:126], v[80:81], s[44:45]
	v_add_f64 v[115:116], v[8:9], v[115:116]
	v_mul_f64 v[131:132], v[86:87], s[50:51]
	v_add_f64 v[92:93], v[28:29], -v[24:25]
	v_add_f64 v[90:91], v[30:31], -v[26:27]
	v_add_f64 v[133:134], v[133:134], v[88:89]
	v_fma_f64 v[109:110], v[64:65], s[36:37], v[109:110]
	s_mov_b32 s52, 0x66966769
	s_mov_b32 s53, 0xbfefc445
	v_add_f64 v[113:114], v[113:114], v[115:116]
	v_fma_f64 v[115:116], v[76:77], s[20:21], -v[117:118]
	s_mov_b32 s55, 0x3fefc445
	s_mov_b32 s54, s52
	v_fma_f64 v[135:136], v[48:49], s[38:39], v[125:126]
	v_fma_f64 v[137:138], v[92:93], s[52:53], v[131:132]
	v_add_f64 v[88:89], v[28:29], v[24:25]
	v_mul_f64 v[117:118], v[90:91], s[54:55]
	v_add_f64 v[109:110], v[109:110], v[133:134]
	v_mul_f64 v[133:134], v[62:63], s[20:21]
	v_fma_f64 v[111:112], v[50:51], s[48:49], v[111:112]
	v_add_f64 v[113:114], v[115:116], v[113:114]
	v_fma_f64 v[115:116], v[78:79], s[40:41], -v[123:124]
	v_add_f64 v[123:124], v[127:128], v[44:45]
	v_add_f64 v[44:45], v[135:136], v[46:47]
	;; [unrolled: 1-line block ×3, first 2 shown]
	v_fma_f64 v[121:122], v[88:89], s[50:51], v[117:118]
	v_fma_f64 v[127:128], v[60:61], s[26:27], v[133:134]
	v_mul_f64 v[135:136], v[58:59], s[50:51]
	v_add_f64 v[109:110], v[111:112], v[109:110]
	v_add_f64 v[111:112], v[115:116], v[113:114]
	v_fma_f64 v[113:114], v[68:69], s[44:45], v[119:120]
	v_fma_f64 v[115:116], v[48:49], s[38:39], -v[125:126]
	v_mul_f64 v[119:120], v[96:97], s[36:37]
	v_add_f64 v[44:45], v[121:122], v[44:45]
	v_add_f64 v[121:122], v[10:11], v[127:128]
	v_fma_f64 v[125:126], v[54:55], s[52:53], v[135:136]
	v_mul_f64 v[127:128], v[56:57], s[40:41]
	v_add_f64 v[129:130], v[129:130], v[42:43]
	v_add_f64 v[42:43], v[113:114], v[109:110]
	;; [unrolled: 1-line block ×3, first 2 shown]
	v_fma_f64 v[111:112], v[94:95], s[20:21], v[119:120]
	v_mul_f64 v[113:114], v[74:75], s[54:55]
	v_fma_f64 v[115:116], v[92:93], s[54:55], v[131:132]
	v_add_f64 v[121:122], v[125:126], v[121:122]
	v_fma_f64 v[125:126], v[64:65], s[48:49], v[127:128]
	v_mul_f64 v[131:132], v[72:73], s[12:13]
	v_fma_f64 v[117:118], v[88:89], s[50:51], -v[117:118]
	v_mul_f64 v[139:140], v[82:83], s[42:43]
	v_add_f64 v[111:112], v[8:9], v[111:112]
	v_fma_f64 v[137:138], v[66:67], s[50:51], v[113:114]
	v_add_f64 v[123:124], v[123:124], v[40:41]
	v_add_f64 v[42:43], v[115:116], v[42:43]
	;; [unrolled: 1-line block ×3, first 2 shown]
	v_fma_f64 v[121:122], v[50:51], s[30:31], v[131:132]
	v_add_f64 v[40:41], v[117:118], v[109:110]
	v_mul_f64 v[109:110], v[70:71], s[14:15]
	v_fma_f64 v[117:118], v[60:61], s[36:37], v[133:134]
	v_add_f64 v[111:112], v[137:138], v[111:112]
	v_fma_f64 v[125:126], v[76:77], s[40:41], v[139:140]
	v_mul_f64 v[133:134], v[84:85], s[24:25]
	v_add_f64 v[129:130], v[129:130], v[38:39]
	v_add_f64 v[38:39], v[121:122], v[115:116]
	v_fma_f64 v[115:116], v[94:95], s[20:21], -v[119:120]
	v_fma_f64 v[119:120], v[54:55], s[54:55], v[135:136]
	v_add_f64 v[117:118], v[10:11], v[117:118]
	v_fma_f64 v[121:122], v[68:69], s[28:29], v[109:110]
	v_add_f64 v[111:112], v[125:126], v[111:112]
	v_fma_f64 v[125:126], v[78:79], s[12:13], v[133:134]
	v_mul_f64 v[135:136], v[80:81], s[34:35]
	v_fma_f64 v[113:114], v[66:67], s[50:51], -v[113:114]
	v_add_f64 v[115:116], v[8:9], v[115:116]
	v_mul_f64 v[137:138], v[86:87], s[38:39]
	v_add_f64 v[117:118], v[119:120], v[117:118]
	v_fma_f64 v[119:120], v[64:65], s[42:43], v[127:128]
	v_add_f64 v[38:39], v[121:122], v[38:39]
	v_add_f64 v[111:112], v[125:126], v[111:112]
	v_fma_f64 v[121:122], v[48:49], s[14:15], v[135:136]
	v_mul_f64 v[125:126], v[90:91], s[44:45]
	v_add_f64 v[113:114], v[113:114], v[115:116]
	v_fma_f64 v[115:116], v[76:77], s[40:41], -v[139:140]
	v_fma_f64 v[127:128], v[92:93], s[46:47], v[137:138]
	v_add_f64 v[117:118], v[119:120], v[117:118]
	v_fma_f64 v[119:120], v[50:51], s[24:25], v[131:132]
	v_add_f64 v[123:124], v[123:124], v[36:37]
	v_add_f64 v[36:37], v[121:122], v[111:112]
	v_fma_f64 v[111:112], v[88:89], s[38:39], v[125:126]
	v_mul_f64 v[121:122], v[62:63], s[38:39]
	v_add_f64 v[113:114], v[115:116], v[113:114]
	v_fma_f64 v[115:116], v[78:79], s[12:13], -v[133:134]
	v_add_f64 v[38:39], v[127:128], v[38:39]
	v_add_f64 v[117:118], v[119:120], v[117:118]
	v_fma_f64 v[109:110], v[68:69], s[34:35], v[109:110]
	v_mul_f64 v[119:120], v[96:97], s[44:45]
	v_add_f64 v[36:37], v[111:112], v[36:37]
	v_fma_f64 v[111:112], v[60:61], s[46:47], v[121:122]
	v_mul_f64 v[127:128], v[58:59], s[20:21]
	v_add_f64 v[113:114], v[115:116], v[113:114]
	v_fma_f64 v[115:116], v[48:49], s[14:15], -v[135:136]
	v_add_f64 v[129:130], v[129:130], v[34:35]
	v_add_f64 v[34:35], v[109:110], v[117:118]
	v_fma_f64 v[109:110], v[94:95], s[38:39], v[119:120]
	v_mul_f64 v[117:118], v[74:75], s[26:27]
	v_add_f64 v[111:112], v[10:11], v[111:112]
	v_fma_f64 v[131:132], v[54:55], s[36:37], v[127:128]
	v_mul_f64 v[133:134], v[56:57], s[14:15]
	v_add_f64 v[113:114], v[115:116], v[113:114]
	v_fma_f64 v[115:116], v[92:93], s[44:45], v[137:138]
	v_fma_f64 v[125:126], v[88:89], s[38:39], -v[125:126]
	v_add_f64 v[109:110], v[8:9], v[109:110]
	v_fma_f64 v[135:136], v[66:67], s[20:21], v[117:118]
	v_mul_f64 v[137:138], v[82:83], s[34:35]
	v_add_f64 v[111:112], v[131:132], v[111:112]
	v_fma_f64 v[131:132], v[64:65], s[28:29], v[133:134]
	v_mul_f64 v[139:140], v[72:73], s[50:51]
	v_add_f64 v[123:124], v[123:124], v[32:33]
	v_add_f64 v[34:35], v[115:116], v[34:35]
	;; [unrolled: 1-line block ×4, first 2 shown]
	v_fma_f64 v[113:114], v[76:77], s[14:15], v[137:138]
	v_mul_f64 v[115:116], v[84:85], s[52:53]
	v_add_f64 v[111:112], v[131:132], v[111:112]
	v_fma_f64 v[125:126], v[50:51], s[54:55], v[139:140]
	v_fma_f64 v[121:122], v[60:61], s[44:45], v[121:122]
	v_mul_f64 v[131:132], v[70:71], s[12:13]
	v_add_f64 v[129:130], v[129:130], v[30:31]
	v_fma_f64 v[30:31], v[94:95], s[38:39], -v[119:120]
	v_add_f64 v[109:110], v[113:114], v[109:110]
	v_fma_f64 v[113:114], v[78:79], s[50:51], v[115:116]
	v_mul_f64 v[119:120], v[80:81], s[24:25]
	v_add_f64 v[111:112], v[125:126], v[111:112]
	v_fma_f64 v[125:126], v[54:55], s[26:27], v[127:128]
	v_add_f64 v[121:122], v[10:11], v[121:122]
	v_fma_f64 v[117:118], v[66:67], s[20:21], -v[117:118]
	v_add_f64 v[30:31], v[8:9], v[30:31]
	v_fma_f64 v[127:128], v[68:69], s[30:31], v[131:132]
	v_add_f64 v[109:110], v[113:114], v[109:110]
	v_fma_f64 v[113:114], v[48:49], s[12:13], v[119:120]
	v_mul_f64 v[135:136], v[86:87], s[40:41]
	v_mul_f64 v[141:142], v[90:91], s[48:49]
	v_add_f64 v[121:122], v[125:126], v[121:122]
	v_fma_f64 v[125:126], v[64:65], s[34:35], v[133:134]
	v_add_f64 v[30:31], v[117:118], v[30:31]
	v_fma_f64 v[117:118], v[76:77], s[14:15], -v[137:138]
	v_add_f64 v[111:112], v[127:128], v[111:112]
	v_mul_f64 v[127:128], v[62:63], s[50:51]
	v_add_f64 v[109:110], v[113:114], v[109:110]
	v_fma_f64 v[113:114], v[92:93], s[42:43], v[135:136]
	v_fma_f64 v[133:134], v[88:89], s[40:41], v[141:142]
	v_add_f64 v[121:122], v[125:126], v[121:122]
	v_fma_f64 v[125:126], v[50:51], s[52:53], v[139:140]
	v_add_f64 v[117:118], v[117:118], v[30:31]
	v_fma_f64 v[115:116], v[78:79], s[50:51], -v[115:116]
	v_fma_f64 v[137:138], v[60:61], s[54:55], v[127:128]
	v_mul_f64 v[139:140], v[58:59], s[12:13]
	v_add_f64 v[123:124], v[123:124], v[28:29]
	v_add_f64 v[30:31], v[113:114], v[111:112]
	;; [unrolled: 1-line block ×4, first 2 shown]
	v_fma_f64 v[111:112], v[68:69], s[24:25], v[131:132]
	v_add_f64 v[113:114], v[115:116], v[117:118]
	v_add_f64 v[115:116], v[10:11], v[137:138]
	v_fma_f64 v[117:118], v[54:55], s[24:25], v[139:140]
	v_mul_f64 v[121:122], v[56:57], s[38:39]
	v_fma_f64 v[119:120], v[48:49], s[12:13], -v[119:120]
	v_mul_f64 v[125:126], v[96:97], s[52:53]
	v_add_f64 v[129:130], v[129:130], v[26:27]
	v_add_f64 v[26:27], v[111:112], v[109:110]
	v_fma_f64 v[109:110], v[92:93], s[48:49], v[135:136]
	v_add_f64 v[111:112], v[123:124], v[24:25]
	v_add_f64 v[24:25], v[117:118], v[115:116]
	v_fma_f64 v[115:116], v[64:65], s[44:45], v[121:122]
	v_add_f64 v[113:114], v[119:120], v[113:114]
	v_fma_f64 v[117:118], v[94:95], s[50:51], v[125:126]
	v_mul_f64 v[119:120], v[74:75], s[30:31]
	v_mul_f64 v[131:132], v[82:83], s[46:47]
	v_add_f64 v[26:27], v[109:110], v[26:27]
	v_fma_f64 v[109:110], v[60:61], s[52:53], v[127:128]
	v_mul_f64 v[127:128], v[72:73], s[14:15]
	v_add_f64 v[24:25], v[115:116], v[24:25]
	v_fma_f64 v[115:116], v[94:95], s[50:51], -v[125:126]
	v_add_f64 v[117:118], v[8:9], v[117:118]
	v_fma_f64 v[125:126], v[66:67], s[12:13], v[119:120]
	v_fma_f64 v[133:134], v[54:55], s[30:31], v[139:140]
	v_fma_f64 v[119:120], v[66:67], s[12:13], -v[119:120]
	v_add_f64 v[109:110], v[10:11], v[109:110]
	v_fma_f64 v[135:136], v[50:51], s[28:29], v[127:128]
	v_mul_f64 v[139:140], v[84:85], s[34:35]
	v_add_f64 v[115:116], v[8:9], v[115:116]
	v_fma_f64 v[121:122], v[64:65], s[46:47], v[121:122]
	v_add_f64 v[117:118], v[125:126], v[117:118]
	v_fma_f64 v[125:126], v[76:77], s[38:39], v[131:132]
	v_fma_f64 v[123:124], v[88:89], s[40:41], -v[141:142]
	v_add_f64 v[109:110], v[133:134], v[109:110]
	v_mul_f64 v[137:138], v[70:71], s[40:41]
	v_add_f64 v[133:134], v[135:136], v[24:25]
	v_add_f64 v[115:116], v[119:120], v[115:116]
	v_fma_f64 v[119:120], v[76:77], s[38:39], -v[131:132]
	v_mul_f64 v[135:136], v[80:81], s[42:43]
	v_add_f64 v[117:118], v[125:126], v[117:118]
	v_fma_f64 v[125:126], v[78:79], s[14:15], v[139:140]
	v_add_f64 v[109:110], v[121:122], v[109:110]
	v_fma_f64 v[121:122], v[50:51], s[34:35], v[127:128]
	v_fma_f64 v[131:132], v[68:69], s[48:49], v[137:138]
	v_add_f64 v[24:25], v[123:124], v[113:114]
	v_add_f64 v[113:114], v[119:120], v[115:116]
	v_fma_f64 v[115:116], v[78:79], s[14:15], -v[139:140]
	v_mul_f64 v[119:120], v[86:87], s[20:21]
	v_add_f64 v[117:118], v[125:126], v[117:118]
	v_fma_f64 v[125:126], v[48:49], s[40:41], v[135:136]
	v_add_f64 v[109:110], v[121:122], v[109:110]
	v_mul_f64 v[121:122], v[90:91], s[36:37]
	v_fma_f64 v[127:128], v[68:69], s[42:43], v[137:138]
	v_add_f64 v[123:124], v[131:132], v[133:134]
	v_add_f64 v[113:114], v[115:116], v[113:114]
	v_fma_f64 v[115:116], v[92:93], s[26:27], v[119:120]
	v_fma_f64 v[131:132], v[48:49], s[40:41], -v[135:136]
	v_add_f64 v[22:23], v[129:130], v[22:23]
	v_add_f64 v[111:112], v[111:112], v[20:21]
	;; [unrolled: 1-line block ×3, first 2 shown]
	v_fma_f64 v[125:126], v[88:89], s[20:21], v[121:122]
	v_add_f64 v[109:110], v[127:128], v[109:110]
	v_fma_f64 v[119:120], v[92:93], s[36:37], v[119:120]
	v_add_f64 v[20:21], v[115:116], v[123:124]
	v_add_f64 v[113:114], v[131:132], v[113:114]
	v_fma_f64 v[115:116], v[88:89], s[20:21], -v[121:122]
	v_add_f64 v[22:23], v[22:23], v[18:19]
	v_add_f64 v[16:17], v[111:112], v[16:17]
	;; [unrolled: 1-line block ×3, first 2 shown]
	v_mul_f64 v[117:118], v[62:63], s[40:41]
	v_add_f64 v[111:112], v[119:120], v[109:110]
	v_mul_f64 v[119:120], v[96:97], s[42:43]
	v_mul_f64 v[62:63], v[62:63], s[14:15]
	v_add_f64 v[109:110], v[115:116], v[113:114]
	v_add_f64 v[14:15], v[22:23], v[14:15]
	;; [unrolled: 1-line block ×3, first 2 shown]
	v_mul_f64 v[16:17], v[96:97], s[28:29]
	v_fma_f64 v[22:23], v[60:61], s[48:49], v[117:118]
	v_fma_f64 v[96:97], v[60:61], s[42:43], v[117:118]
	;; [unrolled: 1-line block ×3, first 2 shown]
	v_mul_f64 v[115:116], v[58:59], s[38:39]
	v_fma_f64 v[117:118], v[60:61], s[34:35], v[62:63]
	v_fma_f64 v[60:61], v[60:61], s[28:29], v[62:63]
	v_mul_f64 v[62:63], v[74:75], s[44:45]
	v_fma_f64 v[119:120], v[94:95], s[40:41], -v[119:120]
	v_fma_f64 v[121:122], v[94:95], s[14:15], v[16:17]
	v_fma_f64 v[16:17], v[94:95], s[14:15], -v[16:17]
	v_add_f64 v[22:23], v[10:11], v[22:23]
	v_fma_f64 v[94:95], v[54:55], s[46:47], v[115:116]
	v_mul_f64 v[123:124], v[56:57], s[12:13]
	v_add_f64 v[113:114], v[8:9], v[113:114]
	v_fma_f64 v[125:126], v[66:67], s[38:39], v[62:63]
	v_mul_f64 v[127:128], v[82:83], s[30:31]
	v_mul_f64 v[129:130], v[72:73], s[20:21]
	;; [unrolled: 1-line block ×3, first 2 shown]
	v_add_f64 v[96:97], v[10:11], v[96:97]
	v_add_f64 v[22:23], v[94:95], v[22:23]
	v_fma_f64 v[94:95], v[64:65], s[24:25], v[123:124]
	v_add_f64 v[119:120], v[8:9], v[119:120]
	v_add_f64 v[113:114], v[125:126], v[113:114]
	v_fma_f64 v[125:126], v[76:77], s[12:13], v[127:128]
	v_add_f64 v[121:122], v[8:9], v[121:122]
	v_add_f64 v[8:9], v[8:9], v[16:17]
	;; [unrolled: 1-line block ×3, first 2 shown]
	v_fma_f64 v[14:15], v[54:55], s[44:45], v[115:116]
	v_add_f64 v[16:17], v[94:95], v[22:23]
	v_fma_f64 v[22:23], v[50:51], s[36:37], v[129:130]
	v_add_f64 v[115:116], v[12:13], v[4:5]
	v_add_f64 v[94:95], v[125:126], v[113:114]
	v_fma_f64 v[113:114], v[78:79], s[20:21], v[131:132]
	v_mul_f64 v[125:126], v[80:81], s[54:55]
	v_mul_f64 v[58:59], v[58:59], s[40:41]
	v_add_f64 v[14:15], v[14:15], v[96:97]
	v_mul_f64 v[74:75], v[74:75], s[42:43]
	v_add_f64 v[4:5], v[22:23], v[16:17]
	v_fma_f64 v[16:17], v[66:67], s[38:39], -v[62:63]
	v_add_f64 v[117:118], v[10:11], v[117:118]
	v_add_f64 v[22:23], v[113:114], v[94:95]
	v_fma_f64 v[62:63], v[48:49], s[50:51], v[125:126]
	v_fma_f64 v[94:95], v[64:65], s[30:31], v[123:124]
	v_add_f64 v[10:11], v[10:11], v[60:61]
	v_mul_f64 v[60:61], v[70:71], s[50:51]
	v_mul_f64 v[82:83], v[82:83], s[52:53]
	v_fma_f64 v[96:97], v[50:51], s[26:27], v[129:130]
	v_mul_f64 v[84:85], v[84:85], s[44:45]
	v_mul_f64 v[56:57], v[56:57], s[50:51]
	v_add_f64 v[22:23], v[62:63], v[22:23]
	v_fma_f64 v[62:63], v[54:55], s[48:49], v[58:59]
	v_add_f64 v[14:15], v[94:95], v[14:15]
	v_fma_f64 v[94:95], v[66:67], s[40:41], v[74:75]
	v_fma_f64 v[12:13], v[68:69], s[52:53], v[60:61]
	;; [unrolled: 1-line block ×6, first 2 shown]
	v_add_f64 v[62:63], v[62:63], v[117:118]
	v_fma_f64 v[117:118], v[76:77], s[50:51], v[82:83]
	v_add_f64 v[94:95], v[94:95], v[121:122]
	v_add_f64 v[14:15], v[96:97], v[14:15]
	;; [unrolled: 1-line block ×4, first 2 shown]
	v_fma_f64 v[16:17], v[76:77], s[12:13], -v[127:128]
	v_mul_f64 v[72:73], v[72:73], s[38:39]
	v_fma_f64 v[56:57], v[64:65], s[52:53], v[56:57]
	v_add_f64 v[10:11], v[54:55], v[10:11]
	v_add_f64 v[94:95], v[117:118], v[94:95]
	;; [unrolled: 1-line block ×3, first 2 shown]
	v_fma_f64 v[60:61], v[66:67], s[40:41], -v[74:75]
	v_mul_f64 v[64:65], v[70:71], s[20:21]
	v_add_f64 v[12:13], v[16:17], v[12:13]
	v_fma_f64 v[16:17], v[78:79], s[20:21], -v[131:132]
	v_fma_f64 v[96:97], v[50:51], s[46:47], v[72:73]
	v_fma_f64 v[50:51], v[50:51], s[44:45], v[72:73]
	v_add_f64 v[54:55], v[58:59], v[94:95]
	v_fma_f64 v[58:59], v[76:77], s[50:51], -v[82:83]
	v_add_f64 v[8:9], v[60:61], v[8:9]
	v_add_f64 v[10:11], v[56:57], v[10:11]
	v_fma_f64 v[56:57], v[78:79], s[38:39], -v[84:85]
	v_add_f64 v[12:13], v[16:17], v[12:13]
	v_fma_f64 v[16:17], v[48:49], s[50:51], -v[125:126]
	v_mul_f64 v[70:71], v[80:81], s[36:37]
	v_add_f64 v[62:63], v[113:114], v[62:63]
	v_mul_f64 v[60:61], v[86:87], s[12:13]
	v_add_f64 v[8:9], v[58:59], v[8:9]
	v_fma_f64 v[72:73], v[68:69], s[36:37], v[64:65]
	v_add_f64 v[10:11], v[50:51], v[10:11]
	v_mul_f64 v[76:77], v[90:91], s[30:31]
	v_add_f64 v[66:67], v[16:17], v[12:13]
	v_mul_f64 v[12:13], v[86:87], s[14:15]
	v_fma_f64 v[74:75], v[48:49], s[20:21], -v[70:71]
	v_add_f64 v[16:17], v[96:97], v[62:63]
	v_add_f64 v[56:57], v[56:57], v[8:9]
	v_mul_f64 v[50:51], v[90:91], s[34:35]
	v_fma_f64 v[64:65], v[68:69], s[26:27], v[64:65]
	v_fma_f64 v[48:49], v[48:49], s[20:21], v[70:71]
	;; [unrolled: 1-line block ×6, first 2 shown]
	v_add_f64 v[10:11], v[72:73], v[10:11]
	v_add_f64 v[56:57], v[74:75], v[56:57]
	v_fma_f64 v[68:69], v[88:89], s[12:13], -v[76:77]
	v_add_f64 v[64:65], v[64:65], v[16:17]
	v_fma_f64 v[70:71], v[88:89], s[12:13], v[76:77]
	v_add_f64 v[4:5], v[62:63], v[4:5]
	v_fma_f64 v[62:63], v[88:89], s[14:15], v[50:51]
	v_fma_f64 v[50:51], v[88:89], s[14:15], -v[50:51]
	v_add_f64 v[8:9], v[12:13], v[14:15]
	v_add_f64 v[48:49], v[48:49], v[54:55]
	;; [unrolled: 1-line block ×6, first 2 shown]
	v_mul_i32_i24_e32 v0, 0xd0, v106
	v_add_f64 v[6:7], v[50:51], v[66:67]
	v_add3_u32 v0, 0, v0, v108
	v_add_f64 v[2:3], v[62:63], v[22:23]
	v_add_f64 v[50:51], v[58:59], v[64:65]
	;; [unrolled: 1-line block ×3, first 2 shown]
	ds_write_b128 v0, v[14:17]
	ds_write_b128 v0, v[10:13] offset:16
	ds_write_b128 v0, v[6:9] offset:32
	;; [unrolled: 1-line block ×12, first 2 shown]
.LBB0_17:
	s_or_b64 exec, exec, s[10:11]
	v_mul_i32_i24_e32 v0, 3, v106
	v_mov_b32_e32 v1, 0
	v_lshlrev_b64 v[0:1], 4, v[0:1]
	v_mov_b32_e32 v2, s9
	v_add_co_u32_e32 v12, vcc, s8, v0
	v_addc_co_u32_e32 v13, vcc, v2, v1, vcc
	s_load_dwordx2 s[6:7], s[6:7], 0x0
	s_waitcnt lgkmcnt(0)
	s_barrier
	global_load_dwordx4 v[0:3], v[12:13], off
	global_load_dwordx4 v[4:7], v[12:13], off offset:16
	global_load_dwordx4 v[8:11], v[12:13], off offset:32
	v_add_u32_e32 v28, s4, v105
	v_mul_lo_u32 v29, v28, v106
	v_mul_lo_u32 v28, v28, 13
	s_add_i32 s3, 0, 0x3400
	ds_read_b128 v[12:15], v107
	ds_read_b128 v[16:19], v104 offset:208
	v_and_b32_e32 v30, 63, v29
	v_lshrrev_b32_e32 v31, 2, v29
	v_lshrrev_b32_e32 v32, 8, v29
	v_add_u32_e32 v29, v29, v28
	v_and_b32_e32 v31, 0x3f0, v31
	v_and_b32_e32 v32, 0x3f0, v32
	;; [unrolled: 1-line block ×3, first 2 shown]
	v_lshl_add_u32 v30, v30, 4, 0
	v_lshrrev_b32_e32 v34, 2, v29
	v_lshrrev_b32_e32 v35, 8, v29
	v_add_u32_e32 v29, v29, v28
	v_add_u32_e32 v36, s3, v31
	;; [unrolled: 1-line block ×3, first 2 shown]
	v_lshl_add_u32 v40, v33, 4, 0
	ds_read_b128 v[20:23], v104 offset:416
	ds_read_b128 v[24:27], v104 offset:624
	v_and_b32_e32 v44, 0x3f0, v34
	v_and_b32_e32 v45, 0x3f0, v35
	;; [unrolled: 1-line block ×3, first 2 shown]
	v_lshrrev_b32_e32 v47, 2, v29
	v_lshrrev_b32_e32 v48, 8, v29
	v_add_u32_e32 v49, v29, v28
	ds_read_b128 v[28:31], v30 offset:13312
	ds_read_b128 v[32:35], v36 offset:1024
	ds_read_b128 v[36:39], v37 offset:2048
	ds_read_b128 v[40:43], v40 offset:13312
	v_add_u32_e32 v44, s3, v44
	v_add_u32_e32 v50, s3, v45
	s_waitcnt lgkmcnt(2)
	v_mul_f64 v[78:79], v[30:31], v[34:35]
	v_mul_f64 v[34:35], v[28:29], v[34:35]
	v_and_b32_e32 v55, 0x3f0, v47
	v_and_b32_e32 v56, 0x3f0, v48
	;; [unrolled: 1-line block ×3, first 2 shown]
	v_lshrrev_b32_e32 v58, 2, v49
	v_lshrrev_b32_e32 v59, 8, v49
	v_lshl_add_u32 v54, v46, 4, 0
	v_fma_f64 v[28:29], v[28:29], v[32:33], -v[78:79]
	ds_read_b128 v[44:47], v44 offset:1024
	ds_read_b128 v[48:51], v50 offset:2048
	v_add_u32_e32 v60, s3, v55
	v_add_u32_e32 v62, s3, v56
	v_lshl_add_u32 v66, v57, 4, 0
	v_and_b32_e32 v70, 0x3f0, v58
	v_and_b32_e32 v71, 0x3f0, v59
	ds_read_b128 v[54:57], v54 offset:13312
	ds_read_b128 v[58:61], v60 offset:1024
	;; [unrolled: 1-line block ×4, first 2 shown]
	v_add_u32_e32 v70, s3, v70
	v_add_u32_e32 v74, s3, v71
	ds_read_b128 v[70:73], v70 offset:1024
	ds_read_b128 v[74:77], v74 offset:2048
	s_waitcnt lgkmcnt(7)
	v_mul_f64 v[80:81], v[42:43], v[46:47]
	s_waitcnt lgkmcnt(4)
	v_mul_f64 v[82:83], v[56:57], v[60:61]
	v_mul_f64 v[46:47], v[40:41], v[46:47]
	s_waitcnt lgkmcnt(1)
	v_mul_f64 v[84:85], v[68:69], v[72:73]
	v_mul_f64 v[60:61], v[54:55], v[60:61]
	v_fma_f64 v[30:31], v[30:31], v[32:33], v[34:35]
	v_mul_f64 v[72:73], v[66:67], v[72:73]
	v_mul_f64 v[34:35], v[28:29], v[38:39]
	v_fma_f64 v[32:33], v[40:41], v[44:45], -v[80:81]
	s_waitcnt vmcnt(0) lgkmcnt(0)
	s_barrier
	v_mul_f64 v[40:41], v[32:33], v[50:51]
	v_mul_f64 v[78:79], v[18:19], v[2:3]
	;; [unrolled: 1-line block ×7, first 2 shown]
	v_fma_f64 v[16:17], v[16:17], v[0:1], -v[78:79]
	v_fma_f64 v[0:1], v[18:19], v[0:1], v[2:3]
	v_fma_f64 v[2:3], v[20:21], v[4:5], -v[86:87]
	v_fma_f64 v[4:5], v[22:23], v[4:5], v[6:7]
	v_fma_f64 v[6:7], v[26:27], v[8:9], v[88:89]
	v_fma_f64 v[8:9], v[24:25], v[8:9], -v[10:11]
	v_fma_f64 v[18:19], v[54:55], v[58:59], -v[82:83]
	v_fma_f64 v[10:11], v[42:43], v[44:45], v[46:47]
	v_fma_f64 v[22:23], v[66:67], v[70:71], -v[84:85]
	v_fma_f64 v[20:21], v[56:57], v[58:59], v[60:61]
	v_add_f64 v[2:3], v[12:13], -v[2:3]
	v_add_f64 v[4:5], v[14:15], -v[4:5]
	;; [unrolled: 1-line block ×4, first 2 shown]
	v_mul_f64 v[26:27], v[30:31], v[38:39]
	v_mul_f64 v[44:45], v[18:19], v[64:65]
	v_fma_f64 v[24:25], v[68:69], v[70:71], v[72:73]
	v_mul_f64 v[38:39], v[10:11], v[50:51]
	v_fma_f64 v[12:13], v[12:13], 2.0, -v[2:3]
	v_fma_f64 v[14:15], v[14:15], 2.0, -v[4:5]
	;; [unrolled: 1-line block ×4, first 2 shown]
	v_add_f64 v[54:55], v[4:5], v[8:9]
	v_mul_f64 v[50:51], v[22:23], v[76:77]
	v_fma_f64 v[10:11], v[48:49], v[10:11], v[40:41]
	v_mul_f64 v[42:43], v[20:21], v[64:65]
	v_mul_f64 v[46:47], v[24:25], v[76:77]
	v_add_f64 v[56:57], v[14:15], -v[0:1]
	v_add_f64 v[8:9], v[12:13], -v[16:17]
	;; [unrolled: 1-line block ×3, first 2 shown]
	v_fma_f64 v[6:7], v[36:37], v[28:29], -v[26:27]
	v_fma_f64 v[0:1], v[36:37], v[30:31], v[34:35]
	v_fma_f64 v[28:29], v[4:5], 2.0, -v[54:55]
	v_fma_f64 v[26:27], v[48:49], v[32:33], -v[38:39]
	v_fma_f64 v[18:19], v[62:63], v[18:19], -v[42:43]
	v_fma_f64 v[14:15], v[14:15], 2.0, -v[56:57]
	v_fma_f64 v[4:5], v[12:13], 2.0, -v[8:9]
	v_fma_f64 v[2:3], v[2:3], 2.0, -v[16:17]
	v_fma_f64 v[12:13], v[62:63], v[20:21], v[44:45]
	v_fma_f64 v[20:21], v[74:75], v[24:25], v[50:51]
	v_mul_f64 v[24:25], v[28:29], v[10:11]
	v_fma_f64 v[22:23], v[74:75], v[22:23], -v[46:47]
	v_mul_f64 v[30:31], v[14:15], v[0:1]
	v_mul_f64 v[32:33], v[4:5], v[0:1]
	;; [unrolled: 1-line block ×7, first 2 shown]
	v_fma_f64 v[0:1], v[2:3], v[26:27], -v[24:25]
	v_fma_f64 v[4:5], v[4:5], v[6:7], -v[30:31]
	v_fma_f64 v[6:7], v[14:15], v[6:7], v[32:33]
	v_fma_f64 v[2:3], v[28:29], v[26:27], v[10:11]
	v_fma_f64 v[8:9], v[8:9], v[18:19], -v[34:35]
	v_fma_f64 v[10:11], v[56:57], v[18:19], v[12:13]
	v_fma_f64 v[12:13], v[16:17], v[22:23], -v[36:37]
	v_fma_f64 v[14:15], v[54:55], v[22:23], v[20:21]
	ds_write_b128 v104, v[4:7]
	ds_write_b128 v104, v[0:3] offset:208
	ds_write_b128 v104, v[8:11] offset:416
	ds_write_b128 v104, v[12:15] offset:624
	s_waitcnt lgkmcnt(0)
	s_barrier
	s_and_saveexec_b64 s[4:5], s[0:1]
	s_cbranch_execz .LBB0_19
; %bb.18:
	v_mad_u64_u32 v[4:5], s[0:1], s18, v101, 0
	v_mad_u64_u32 v[6:7], s[0:1], s16, v103, 0
	v_mov_b32_e32 v0, v5
	v_mad_u64_u32 v[0:1], s[0:1], s19, v101, v[0:1]
	v_mov_b32_e32 v1, v7
	s_mul_i32 s3, s7, s2
	s_mul_hi_u32 s4, s6, s2
	v_mad_u64_u32 v[1:2], s[0:1], s17, v103, v[1:2]
	s_add_i32 s1, s4, s3
	s_mul_i32 s0, s6, s2
	s_lshl_b64 s[0:1], s[0:1], 4
	s_add_u32 s0, s22, s0
	v_lshlrev_b64 v[8:9], 4, v[52:53]
	s_addc_u32 s1, s23, s1
	v_mov_b32_e32 v10, s1
	v_add_co_u32_e32 v11, vcc, s0, v8
	v_mov_b32_e32 v5, v0
	v_addc_co_u32_e32 v10, vcc, v10, v9, vcc
	v_mad_u64_u32 v[8:9], s[0:1], s16, v100, 0
	v_lshlrev_b64 v[4:5], 4, v[4:5]
	v_mul_u32_u24_e32 v0, 0x340, v101
	v_mov_b32_e32 v7, v1
	v_add3_u32 v13, 0, v0, v102
	v_add_co_u32_e32 v14, vcc, v11, v4
	ds_read_b128 v[0:3], v13
	v_addc_co_u32_e32 v15, vcc, v10, v5, vcc
	v_lshlrev_b64 v[4:5], 4, v[6:7]
	v_mov_b32_e32 v6, v9
	v_mad_u64_u32 v[9:10], s[0:1], s17, v100, v[6:7]
	v_add_co_u32_e32 v10, vcc, v14, v4
	v_addc_co_u32_e32 v11, vcc, v15, v5, vcc
	ds_read_b128 v[4:7], v13 offset:208
	s_waitcnt lgkmcnt(1)
	global_store_dwordx4 v[10:11], v[0:3], off
	v_mad_u64_u32 v[10:11], s[0:1], s16, v98, 0
	v_lshlrev_b64 v[0:1], 4, v[8:9]
	v_mad_u64_u32 v[8:9], s[0:1], s16, v99, 0
	v_add_co_u32_e32 v0, vcc, v14, v0
	v_mov_b32_e32 v2, v9
	v_mad_u64_u32 v[2:3], s[0:1], s17, v99, v[2:3]
	v_addc_co_u32_e32 v1, vcc, v15, v1, vcc
	s_waitcnt lgkmcnt(0)
	global_store_dwordx4 v[0:1], v[4:7], off
	v_mov_b32_e32 v9, v2
	ds_read_b128 v[0:3], v13 offset:416
	v_mov_b32_e32 v6, v11
	v_lshlrev_b64 v[4:5], 4, v[8:9]
	v_mad_u64_u32 v[8:9], s[0:1], s17, v98, v[6:7]
	v_add_co_u32_e32 v11, vcc, v14, v4
	v_addc_co_u32_e32 v12, vcc, v15, v5, vcc
	ds_read_b128 v[4:7], v13 offset:624
	s_waitcnt lgkmcnt(1)
	global_store_dwordx4 v[11:12], v[0:3], off
	v_mov_b32_e32 v11, v8
	v_lshlrev_b64 v[0:1], 4, v[10:11]
	v_add_co_u32_e32 v0, vcc, v14, v0
	v_addc_co_u32_e32 v1, vcc, v15, v1, vcc
	s_waitcnt lgkmcnt(0)
	global_store_dwordx4 v[0:1], v[4:7], off
.LBB0_19:
	s_endpgm
	.section	.rodata,"a",@progbits
	.p2align	6, 0x0
	.amdhsa_kernel fft_rtc_fwd_len52_factors_13_4_wgs_208_tpt_13_dp_op_CI_CI_sbcc_twdbase6_3step
		.amdhsa_group_segment_fixed_size 0
		.amdhsa_private_segment_fixed_size 0
		.amdhsa_kernarg_size 112
		.amdhsa_user_sgpr_count 6
		.amdhsa_user_sgpr_private_segment_buffer 1
		.amdhsa_user_sgpr_dispatch_ptr 0
		.amdhsa_user_sgpr_queue_ptr 0
		.amdhsa_user_sgpr_kernarg_segment_ptr 1
		.amdhsa_user_sgpr_dispatch_id 0
		.amdhsa_user_sgpr_flat_scratch_init 0
		.amdhsa_user_sgpr_private_segment_size 0
		.amdhsa_uses_dynamic_stack 0
		.amdhsa_system_sgpr_private_segment_wavefront_offset 0
		.amdhsa_system_sgpr_workgroup_id_x 1
		.amdhsa_system_sgpr_workgroup_id_y 0
		.amdhsa_system_sgpr_workgroup_id_z 0
		.amdhsa_system_sgpr_workgroup_info 0
		.amdhsa_system_vgpr_workitem_id 0
		.amdhsa_next_free_vgpr 143
		.amdhsa_next_free_sgpr 56
		.amdhsa_reserve_vcc 1
		.amdhsa_reserve_flat_scratch 0
		.amdhsa_float_round_mode_32 0
		.amdhsa_float_round_mode_16_64 0
		.amdhsa_float_denorm_mode_32 3
		.amdhsa_float_denorm_mode_16_64 3
		.amdhsa_dx10_clamp 1
		.amdhsa_ieee_mode 1
		.amdhsa_fp16_overflow 0
		.amdhsa_exception_fp_ieee_invalid_op 0
		.amdhsa_exception_fp_denorm_src 0
		.amdhsa_exception_fp_ieee_div_zero 0
		.amdhsa_exception_fp_ieee_overflow 0
		.amdhsa_exception_fp_ieee_underflow 0
		.amdhsa_exception_fp_ieee_inexact 0
		.amdhsa_exception_int_div_zero 0
	.end_amdhsa_kernel
	.text
.Lfunc_end0:
	.size	fft_rtc_fwd_len52_factors_13_4_wgs_208_tpt_13_dp_op_CI_CI_sbcc_twdbase6_3step, .Lfunc_end0-fft_rtc_fwd_len52_factors_13_4_wgs_208_tpt_13_dp_op_CI_CI_sbcc_twdbase6_3step
                                        ; -- End function
	.section	.AMDGPU.csdata,"",@progbits
; Kernel info:
; codeLenInByte = 7056
; NumSgprs: 60
; NumVgprs: 143
; ScratchSize: 0
; MemoryBound: 0
; FloatMode: 240
; IeeeMode: 1
; LDSByteSize: 0 bytes/workgroup (compile time only)
; SGPRBlocks: 7
; VGPRBlocks: 35
; NumSGPRsForWavesPerEU: 60
; NumVGPRsForWavesPerEU: 143
; Occupancy: 1
; WaveLimiterHint : 1
; COMPUTE_PGM_RSRC2:SCRATCH_EN: 0
; COMPUTE_PGM_RSRC2:USER_SGPR: 6
; COMPUTE_PGM_RSRC2:TRAP_HANDLER: 0
; COMPUTE_PGM_RSRC2:TGID_X_EN: 1
; COMPUTE_PGM_RSRC2:TGID_Y_EN: 0
; COMPUTE_PGM_RSRC2:TGID_Z_EN: 0
; COMPUTE_PGM_RSRC2:TIDIG_COMP_CNT: 0
	.type	__hip_cuid_f2651c5e047c6bbf,@object ; @__hip_cuid_f2651c5e047c6bbf
	.section	.bss,"aw",@nobits
	.globl	__hip_cuid_f2651c5e047c6bbf
__hip_cuid_f2651c5e047c6bbf:
	.byte	0                               ; 0x0
	.size	__hip_cuid_f2651c5e047c6bbf, 1

	.ident	"AMD clang version 19.0.0git (https://github.com/RadeonOpenCompute/llvm-project roc-6.4.0 25133 c7fe45cf4b819c5991fe208aaa96edf142730f1d)"
	.section	".note.GNU-stack","",@progbits
	.addrsig
	.addrsig_sym __hip_cuid_f2651c5e047c6bbf
	.amdgpu_metadata
---
amdhsa.kernels:
  - .args:
      - .actual_access:  read_only
        .address_space:  global
        .offset:         0
        .size:           8
        .value_kind:     global_buffer
      - .address_space:  global
        .offset:         8
        .size:           8
        .value_kind:     global_buffer
      - .offset:         16
        .size:           8
        .value_kind:     by_value
      - .actual_access:  read_only
        .address_space:  global
        .offset:         24
        .size:           8
        .value_kind:     global_buffer
      - .actual_access:  read_only
        .address_space:  global
        .offset:         32
        .size:           8
        .value_kind:     global_buffer
      - .actual_access:  read_only
        .address_space:  global
        .offset:         40
        .size:           8
        .value_kind:     global_buffer
      - .offset:         48
        .size:           8
        .value_kind:     by_value
      - .actual_access:  read_only
        .address_space:  global
        .offset:         56
        .size:           8
        .value_kind:     global_buffer
      - .actual_access:  read_only
        .address_space:  global
        .offset:         64
        .size:           8
        .value_kind:     global_buffer
      - .offset:         72
        .size:           4
        .value_kind:     by_value
      - .actual_access:  read_only
        .address_space:  global
        .offset:         80
        .size:           8
        .value_kind:     global_buffer
      - .actual_access:  read_only
        .address_space:  global
        .offset:         88
        .size:           8
        .value_kind:     global_buffer
      - .actual_access:  read_only
        .address_space:  global
        .offset:         96
        .size:           8
        .value_kind:     global_buffer
      - .actual_access:  write_only
        .address_space:  global
        .offset:         104
        .size:           8
        .value_kind:     global_buffer
    .group_segment_fixed_size: 0
    .kernarg_segment_align: 8
    .kernarg_segment_size: 112
    .language:       OpenCL C
    .language_version:
      - 2
      - 0
    .max_flat_workgroup_size: 208
    .name:           fft_rtc_fwd_len52_factors_13_4_wgs_208_tpt_13_dp_op_CI_CI_sbcc_twdbase6_3step
    .private_segment_fixed_size: 0
    .sgpr_count:     60
    .sgpr_spill_count: 0
    .symbol:         fft_rtc_fwd_len52_factors_13_4_wgs_208_tpt_13_dp_op_CI_CI_sbcc_twdbase6_3step.kd
    .uniform_work_group_size: 1
    .uses_dynamic_stack: false
    .vgpr_count:     143
    .vgpr_spill_count: 0
    .wavefront_size: 64
amdhsa.target:   amdgcn-amd-amdhsa--gfx906
amdhsa.version:
  - 1
  - 2
...

	.end_amdgpu_metadata
